;; amdgpu-corpus repo=ROCm/rocFFT kind=compiled arch=gfx1030 opt=O3
	.text
	.amdgcn_target "amdgcn-amd-amdhsa--gfx1030"
	.amdhsa_code_object_version 6
	.protected	fft_rtc_fwd_len312_factors_13_4_3_2_wgs_52_tpt_26_dp_ip_CI_unitstride_sbrr_R2C_dirReg ; -- Begin function fft_rtc_fwd_len312_factors_13_4_3_2_wgs_52_tpt_26_dp_ip_CI_unitstride_sbrr_R2C_dirReg
	.globl	fft_rtc_fwd_len312_factors_13_4_3_2_wgs_52_tpt_26_dp_ip_CI_unitstride_sbrr_R2C_dirReg
	.p2align	8
	.type	fft_rtc_fwd_len312_factors_13_4_3_2_wgs_52_tpt_26_dp_ip_CI_unitstride_sbrr_R2C_dirReg,@function
fft_rtc_fwd_len312_factors_13_4_3_2_wgs_52_tpt_26_dp_ip_CI_unitstride_sbrr_R2C_dirReg: ; @fft_rtc_fwd_len312_factors_13_4_3_2_wgs_52_tpt_26_dp_ip_CI_unitstride_sbrr_R2C_dirReg
; %bb.0:
	s_clause 0x2
	s_load_dwordx4 s[8:11], s[4:5], 0x0
	s_load_dwordx2 s[2:3], s[4:5], 0x50
	s_load_dwordx2 s[12:13], s[4:5], 0x18
	v_mul_u32_u24_e32 v1, 0x9d9, v0
	v_mov_b32_e32 v3, 0
	v_lshrrev_b32_e32 v9, 16, v1
	v_mov_b32_e32 v1, 0
	v_mov_b32_e32 v6, v3
	v_mov_b32_e32 v2, 0
	v_lshl_add_u32 v5, s6, 1, v9
	s_waitcnt lgkmcnt(0)
	v_cmp_lt_u64_e64 s0, s[10:11], 2
	s_and_b32 vcc_lo, exec_lo, s0
	s_cbranch_vccnz .LBB0_8
; %bb.1:
	s_load_dwordx2 s[0:1], s[4:5], 0x10
	v_mov_b32_e32 v1, 0
	s_add_u32 s6, s12, 8
	v_mov_b32_e32 v2, 0
	s_addc_u32 s7, s13, 0
	s_mov_b64 s[16:17], 1
	s_waitcnt lgkmcnt(0)
	s_add_u32 s14, s0, 8
	s_addc_u32 s15, s1, 0
.LBB0_2:                                ; =>This Inner Loop Header: Depth=1
	s_load_dwordx2 s[18:19], s[14:15], 0x0
                                        ; implicit-def: $vgpr7_vgpr8
	s_mov_b32 s0, exec_lo
	s_waitcnt lgkmcnt(0)
	v_or_b32_e32 v4, s19, v6
	v_cmpx_ne_u64_e32 0, v[3:4]
	s_xor_b32 s1, exec_lo, s0
	s_cbranch_execz .LBB0_4
; %bb.3:                                ;   in Loop: Header=BB0_2 Depth=1
	v_cvt_f32_u32_e32 v4, s18
	v_cvt_f32_u32_e32 v7, s19
	s_sub_u32 s0, 0, s18
	s_subb_u32 s20, 0, s19
	v_fmac_f32_e32 v4, 0x4f800000, v7
	v_rcp_f32_e32 v4, v4
	v_mul_f32_e32 v4, 0x5f7ffffc, v4
	v_mul_f32_e32 v7, 0x2f800000, v4
	v_trunc_f32_e32 v7, v7
	v_fmac_f32_e32 v4, 0xcf800000, v7
	v_cvt_u32_f32_e32 v7, v7
	v_cvt_u32_f32_e32 v4, v4
	v_mul_lo_u32 v8, s0, v7
	v_mul_hi_u32 v10, s0, v4
	v_mul_lo_u32 v11, s20, v4
	v_add_nc_u32_e32 v8, v10, v8
	v_mul_lo_u32 v10, s0, v4
	v_add_nc_u32_e32 v8, v8, v11
	v_mul_hi_u32 v11, v4, v10
	v_mul_lo_u32 v12, v4, v8
	v_mul_hi_u32 v13, v4, v8
	v_mul_hi_u32 v14, v7, v10
	v_mul_lo_u32 v10, v7, v10
	v_mul_hi_u32 v15, v7, v8
	v_mul_lo_u32 v8, v7, v8
	v_add_co_u32 v11, vcc_lo, v11, v12
	v_add_co_ci_u32_e32 v12, vcc_lo, 0, v13, vcc_lo
	v_add_co_u32 v10, vcc_lo, v11, v10
	v_add_co_ci_u32_e32 v10, vcc_lo, v12, v14, vcc_lo
	v_add_co_ci_u32_e32 v11, vcc_lo, 0, v15, vcc_lo
	v_add_co_u32 v8, vcc_lo, v10, v8
	v_add_co_ci_u32_e32 v10, vcc_lo, 0, v11, vcc_lo
	v_add_co_u32 v4, vcc_lo, v4, v8
	v_add_co_ci_u32_e32 v7, vcc_lo, v7, v10, vcc_lo
	v_mul_hi_u32 v8, s0, v4
	v_mul_lo_u32 v11, s20, v4
	v_mul_lo_u32 v10, s0, v7
	v_add_nc_u32_e32 v8, v8, v10
	v_mul_lo_u32 v10, s0, v4
	v_add_nc_u32_e32 v8, v8, v11
	v_mul_hi_u32 v11, v4, v10
	v_mul_lo_u32 v12, v4, v8
	v_mul_hi_u32 v13, v4, v8
	v_mul_hi_u32 v14, v7, v10
	v_mul_lo_u32 v10, v7, v10
	v_mul_hi_u32 v15, v7, v8
	v_mul_lo_u32 v8, v7, v8
	v_add_co_u32 v11, vcc_lo, v11, v12
	v_add_co_ci_u32_e32 v12, vcc_lo, 0, v13, vcc_lo
	v_add_co_u32 v10, vcc_lo, v11, v10
	v_add_co_ci_u32_e32 v10, vcc_lo, v12, v14, vcc_lo
	v_add_co_ci_u32_e32 v11, vcc_lo, 0, v15, vcc_lo
	v_add_co_u32 v8, vcc_lo, v10, v8
	v_add_co_ci_u32_e32 v10, vcc_lo, 0, v11, vcc_lo
	v_add_co_u32 v4, vcc_lo, v4, v8
	v_add_co_ci_u32_e32 v12, vcc_lo, v7, v10, vcc_lo
	v_mul_hi_u32 v14, v5, v4
	v_mad_u64_u32 v[10:11], null, v6, v4, 0
	v_mad_u64_u32 v[7:8], null, v5, v12, 0
	;; [unrolled: 1-line block ×3, first 2 shown]
	v_add_co_u32 v4, vcc_lo, v14, v7
	v_add_co_ci_u32_e32 v7, vcc_lo, 0, v8, vcc_lo
	v_add_co_u32 v4, vcc_lo, v4, v10
	v_add_co_ci_u32_e32 v4, vcc_lo, v7, v11, vcc_lo
	v_add_co_ci_u32_e32 v7, vcc_lo, 0, v13, vcc_lo
	v_add_co_u32 v4, vcc_lo, v4, v12
	v_add_co_ci_u32_e32 v10, vcc_lo, 0, v7, vcc_lo
	v_mul_lo_u32 v11, s19, v4
	v_mad_u64_u32 v[7:8], null, s18, v4, 0
	v_mul_lo_u32 v12, s18, v10
	v_sub_co_u32 v7, vcc_lo, v5, v7
	v_add3_u32 v8, v8, v12, v11
	v_sub_nc_u32_e32 v11, v6, v8
	v_subrev_co_ci_u32_e64 v11, s0, s19, v11, vcc_lo
	v_add_co_u32 v12, s0, v4, 2
	v_add_co_ci_u32_e64 v13, s0, 0, v10, s0
	v_sub_co_u32 v14, s0, v7, s18
	v_sub_co_ci_u32_e32 v8, vcc_lo, v6, v8, vcc_lo
	v_subrev_co_ci_u32_e64 v11, s0, 0, v11, s0
	v_cmp_le_u32_e32 vcc_lo, s18, v14
	v_cmp_eq_u32_e64 s0, s19, v8
	v_cndmask_b32_e64 v14, 0, -1, vcc_lo
	v_cmp_le_u32_e32 vcc_lo, s19, v11
	v_cndmask_b32_e64 v15, 0, -1, vcc_lo
	v_cmp_le_u32_e32 vcc_lo, s18, v7
	;; [unrolled: 2-line block ×3, first 2 shown]
	v_cndmask_b32_e64 v16, 0, -1, vcc_lo
	v_cmp_eq_u32_e32 vcc_lo, s19, v11
	v_cndmask_b32_e64 v7, v16, v7, s0
	v_cndmask_b32_e32 v11, v15, v14, vcc_lo
	v_add_co_u32 v14, vcc_lo, v4, 1
	v_add_co_ci_u32_e32 v15, vcc_lo, 0, v10, vcc_lo
	v_cmp_ne_u32_e32 vcc_lo, 0, v11
	v_cndmask_b32_e32 v8, v15, v13, vcc_lo
	v_cndmask_b32_e32 v11, v14, v12, vcc_lo
	v_cmp_ne_u32_e32 vcc_lo, 0, v7
	v_cndmask_b32_e32 v8, v10, v8, vcc_lo
	v_cndmask_b32_e32 v7, v4, v11, vcc_lo
.LBB0_4:                                ;   in Loop: Header=BB0_2 Depth=1
	s_andn2_saveexec_b32 s0, s1
	s_cbranch_execz .LBB0_6
; %bb.5:                                ;   in Loop: Header=BB0_2 Depth=1
	v_cvt_f32_u32_e32 v4, s18
	s_sub_i32 s1, 0, s18
	v_rcp_iflag_f32_e32 v4, v4
	v_mul_f32_e32 v4, 0x4f7ffffe, v4
	v_cvt_u32_f32_e32 v4, v4
	v_mul_lo_u32 v7, s1, v4
	v_mul_hi_u32 v7, v4, v7
	v_add_nc_u32_e32 v4, v4, v7
	v_mul_hi_u32 v4, v5, v4
	v_mul_lo_u32 v7, v4, s18
	v_add_nc_u32_e32 v8, 1, v4
	v_sub_nc_u32_e32 v7, v5, v7
	v_subrev_nc_u32_e32 v10, s18, v7
	v_cmp_le_u32_e32 vcc_lo, s18, v7
	v_cndmask_b32_e32 v7, v7, v10, vcc_lo
	v_cndmask_b32_e32 v4, v4, v8, vcc_lo
	v_cmp_le_u32_e32 vcc_lo, s18, v7
	v_add_nc_u32_e32 v8, 1, v4
	v_cndmask_b32_e32 v7, v4, v8, vcc_lo
	v_mov_b32_e32 v8, v3
.LBB0_6:                                ;   in Loop: Header=BB0_2 Depth=1
	s_or_b32 exec_lo, exec_lo, s0
	s_load_dwordx2 s[0:1], s[6:7], 0x0
	v_mul_lo_u32 v4, v8, s18
	v_mul_lo_u32 v12, v7, s19
	v_mad_u64_u32 v[10:11], null, v7, s18, 0
	s_add_u32 s16, s16, 1
	s_addc_u32 s17, s17, 0
	s_add_u32 s6, s6, 8
	s_addc_u32 s7, s7, 0
	;; [unrolled: 2-line block ×3, first 2 shown]
	v_add3_u32 v4, v11, v12, v4
	v_sub_co_u32 v5, vcc_lo, v5, v10
	v_sub_co_ci_u32_e32 v4, vcc_lo, v6, v4, vcc_lo
	s_waitcnt lgkmcnt(0)
	v_mul_lo_u32 v6, s1, v5
	v_mul_lo_u32 v4, s0, v4
	v_mad_u64_u32 v[1:2], null, s0, v5, v[1:2]
	v_cmp_ge_u64_e64 s0, s[16:17], s[10:11]
	s_and_b32 vcc_lo, exec_lo, s0
	v_add3_u32 v2, v6, v2, v4
	s_cbranch_vccnz .LBB0_9
; %bb.7:                                ;   in Loop: Header=BB0_2 Depth=1
	v_mov_b32_e32 v5, v7
	v_mov_b32_e32 v6, v8
	s_branch .LBB0_2
.LBB0_8:
	v_mov_b32_e32 v8, v6
	v_mov_b32_e32 v7, v5
.LBB0_9:
	s_lshl_b64 s[0:1], s[10:11], 3
	v_mul_hi_u32 v3, 0x9d89d8a, v0
	s_add_u32 s0, s12, s0
	s_addc_u32 s1, s13, s1
	v_and_b32_e32 v6, 1, v9
	s_load_dwordx2 s[0:1], s[0:1], 0x0
	s_load_dwordx2 s[4:5], s[4:5], 0x20
	v_cmp_eq_u32_e32 vcc_lo, 1, v6
	v_mul_u32_u24_e32 v3, 26, v3
	v_sub_nc_u32_e32 v52, v0, v3
	v_lshlrev_b32_e32 v77, 4, v52
	s_waitcnt lgkmcnt(0)
	v_mul_lo_u32 v4, s0, v8
	v_mul_lo_u32 v5, s1, v7
	v_mad_u64_u32 v[1:2], null, s0, v7, v[1:2]
	v_add3_u32 v2, v5, v2, v4
	v_cndmask_b32_e64 v4, 0, 0x139, vcc_lo
	v_cmp_gt_u64_e32 vcc_lo, s[4:5], v[7:8]
	v_lshlrev_b64 v[54:55], 4, v[1:2]
	v_lshlrev_b32_e32 v80, 4, v4
	s_and_saveexec_b32 s1, vcc_lo
	s_cbranch_execz .LBB0_11
; %bb.10:
	v_mov_b32_e32 v53, 0
	v_add_co_u32 v2, s0, s2, v54
	v_add_co_ci_u32_e64 v3, s0, s3, v55, s0
	v_lshlrev_b64 v[0:1], 4, v[52:53]
	v_add3_u32 v48, 0, v80, v77
	v_add_co_u32 v24, s0, v2, v0
	v_add_co_ci_u32_e64 v25, s0, v3, v1, s0
	v_add_co_u32 v36, s0, 0x800, v24
	v_add_co_ci_u32_e64 v37, s0, 0, v25, s0
	;; [unrolled: 2-line block ×3, first 2 shown]
	s_clause 0xb
	global_load_dwordx4 v[0:3], v[24:25], off
	global_load_dwordx4 v[4:7], v[24:25], off offset:416
	global_load_dwordx4 v[8:11], v[24:25], off offset:832
	;; [unrolled: 1-line block ×11, first 2 shown]
	s_waitcnt vmcnt(11)
	ds_write_b128 v48, v[0:3]
	s_waitcnt vmcnt(10)
	ds_write_b128 v48, v[4:7] offset:416
	s_waitcnt vmcnt(9)
	ds_write_b128 v48, v[8:11] offset:832
	;; [unrolled: 2-line block ×11, first 2 shown]
.LBB0_11:
	s_or_b32 exec_lo, exec_lo, s1
	v_add_nc_u32_e32 v78, 0, v80
	v_add_nc_u32_e32 v53, 0, v77
	s_waitcnt lgkmcnt(0)
	s_barrier
	buffer_gl0_inv
	v_add_nc_u32_e32 v76, v78, v77
	v_add_nc_u32_e32 v79, v53, v80
	s_mov_b32 s33, exec_lo
	ds_read_b128 v[0:3], v76
	ds_read_b128 v[48:51], v79 offset:384
	ds_read_b128 v[44:47], v79 offset:768
	;; [unrolled: 1-line block ×12, first 2 shown]
	s_waitcnt lgkmcnt(0)
	s_barrier
	buffer_gl0_inv
	v_cmpx_gt_u32_e32 24, v52
	s_cbranch_execz .LBB0_13
; %bb.12:
	v_add_f64 v[56:57], v[2:3], v[50:51]
	v_add_f64 v[58:59], v[0:1], v[48:49]
	;; [unrolled: 1-line block ×3, first 2 shown]
	v_add_f64 v[66:67], v[50:51], -v[6:7]
	s_mov_b32 s0, 0x93053d00
	s_mov_b32 s4, 0x4bc48dbf
	;; [unrolled: 1-line block ×6, first 2 shown]
	v_add_f64 v[50:51], v[46:47], v[10:11]
	v_add_f64 v[62:63], v[48:49], -v[4:5]
	v_add_f64 v[60:61], v[48:49], v[4:5]
	s_mov_b32 s10, 0xe00740e9
	s_mov_b32 s12, 0x4267c47c
	;; [unrolled: 1-line block ×6, first 2 shown]
	v_add_f64 v[48:49], v[44:45], -v[8:9]
	s_mov_b32 s16, 0xd0032e0c
	s_mov_b32 s20, 0x24c2f84
	v_add_f64 v[56:57], v[56:57], v[46:47]
	v_add_f64 v[58:59], v[58:59], v[44:45]
	v_add_f64 v[46:47], v[46:47], -v[10:11]
	v_mul_f64 v[81:82], v[64:65], s[0:1]
	v_mul_f64 v[83:84], v[66:67], s[6:7]
	s_mov_b32 s17, 0xbfe7f3cc
	s_mov_b32 s21, 0x3fe5384d
	;; [unrolled: 1-line block ×5, first 2 shown]
	v_mul_f64 v[85:86], v[50:51], s[10:11]
	s_mov_b32 s26, 0x42a4c3d2
	s_mov_b32 s23, 0x3fe22d96
	;; [unrolled: 1-line block ×11, first 2 shown]
	v_add_f64 v[56:57], v[56:57], v[42:43]
	v_add_f64 v[58:59], v[58:59], v[40:41]
	v_mul_f64 v[87:88], v[46:47], s[14:15]
	v_fma_f64 v[89:90], v[62:63], s[4:5], v[81:82]
	v_fma_f64 v[91:92], v[60:61], s[0:1], v[83:84]
	s_mov_b32 s36, 0xebaa3ed8
	s_mov_b32 s40, 0x66966769
	;; [unrolled: 1-line block ×5, first 2 shown]
	v_fma_f64 v[101:102], v[48:49], s[12:13], v[85:86]
	s_mov_b32 s38, s40
	v_fma_f64 v[81:82], v[62:63], s[6:7], v[81:82]
	v_fma_f64 v[83:84], v[60:61], s[0:1], -v[83:84]
	v_mul_f64 v[113:114], v[46:47], s[38:39]
	v_mul_f64 v[115:116], v[50:51], s[16:17]
	v_fma_f64 v[85:86], v[48:49], s[14:15], v[85:86]
	v_mul_f64 v[123:124], v[50:51], s[0:1]
	v_add_f64 v[56:57], v[56:57], v[38:39]
	v_add_f64 v[58:59], v[58:59], v[36:37]
	;; [unrolled: 1-line block ×9, first 2 shown]
	v_add_f64 v[56:57], v[42:43], -v[18:19]
	v_add_f64 v[42:43], v[44:45], v[8:9]
	v_add_f64 v[44:45], v[40:41], -v[16:17]
	v_add_f64 v[89:90], v[101:102], v[89:90]
	v_add_f64 v[81:82], v[85:86], v[81:82]
	v_fma_f64 v[85:86], v[48:49], s[18:19], v[115:116]
	v_fma_f64 v[115:116], v[48:49], s[20:21], v[115:116]
	v_add_f64 v[72:73], v[68:69], v[14:15]
	v_add_f64 v[74:75], v[70:71], v[12:13]
	;; [unrolled: 1-line block ×3, first 2 shown]
	v_add_f64 v[68:69], v[38:39], -v[30:31]
	v_add_f64 v[38:39], v[40:41], v[16:17]
	v_mul_f64 v[97:98], v[58:59], s[16:17]
	v_mul_f64 v[99:100], v[56:57], s[18:19]
	v_fma_f64 v[103:104], v[42:43], s[10:11], v[87:88]
	v_add_f64 v[40:41], v[36:37], -v[28:29]
	v_fma_f64 v[87:88], v[42:43], s[10:11], -v[87:88]
	v_fma_f64 v[131:132], v[42:43], s[36:37], v[113:114]
	v_add_f64 v[93:94], v[72:73], v[22:23]
	v_add_f64 v[95:96], v[74:75], v[20:21]
	;; [unrolled: 1-line block ×3, first 2 shown]
	v_add_f64 v[72:73], v[26:27], -v[34:35]
	v_add_f64 v[26:27], v[36:37], v[28:29]
	v_mul_f64 v[105:106], v[70:71], s[22:23]
	v_mul_f64 v[107:108], v[68:69], s[24:25]
	v_fma_f64 v[109:110], v[44:45], s[20:21], v[97:98]
	v_fma_f64 v[111:112], v[38:39], s[16:17], v[99:100]
	v_add_f64 v[91:92], v[103:104], v[91:92]
	v_add_f64 v[36:37], v[14:15], v[22:23]
	;; [unrolled: 1-line block ×3, first 2 shown]
	v_mul_f64 v[87:88], v[56:57], s[26:27]
	v_fma_f64 v[97:98], v[44:45], s[18:19], v[97:98]
	v_fma_f64 v[99:100], v[38:39], s[16:17], -v[99:100]
	v_add_f64 v[93:94], v[93:94], v[34:35]
	v_add_f64 v[95:96], v[95:96], v[32:33]
	v_add_f64 v[34:35], v[14:15], -v[22:23]
	v_add_f64 v[22:23], v[24:25], -v[32:33]
	v_add_f64 v[14:15], v[24:25], v[32:33]
	v_mul_f64 v[32:33], v[74:75], s[28:29]
	v_fma_f64 v[101:102], v[26:27], s[22:23], v[107:108]
	v_add_f64 v[89:90], v[109:110], v[89:90]
	v_add_f64 v[24:25], v[12:13], -v[20:21]
	v_add_f64 v[91:92], v[111:112], v[91:92]
	v_add_f64 v[12:13], v[12:13], v[20:21]
	v_mul_f64 v[20:21], v[64:65], s[16:17]
	v_fma_f64 v[107:108], v[26:27], s[22:23], -v[107:108]
	v_add_f64 v[81:82], v[97:98], v[81:82]
	v_add_f64 v[83:84], v[99:100], v[83:84]
	v_mul_f64 v[99:100], v[70:71], s[36:37]
	v_add_f64 v[30:31], v[93:94], v[30:31]
	v_add_f64 v[28:29], v[95:96], v[28:29]
	v_mul_f64 v[93:94], v[72:73], s[34:35]
	v_fma_f64 v[95:96], v[40:41], s[26:27], v[105:106]
	v_mul_f64 v[103:104], v[34:35], s[38:39]
	v_fma_f64 v[109:110], v[22:23], s[30:31], v[32:33]
	v_fma_f64 v[105:106], v[40:41], s[24:25], v[105:106]
	;; [unrolled: 1-line block ×3, first 2 shown]
	v_add_f64 v[91:92], v[101:102], v[91:92]
	v_mul_f64 v[101:102], v[66:67], s[34:35]
	v_add_f64 v[83:84], v[107:108], v[83:84]
	v_add_f64 v[18:19], v[30:31], v[18:19]
	;; [unrolled: 1-line block ×3, first 2 shown]
	v_mul_f64 v[28:29], v[66:67], s[18:19]
	v_mul_f64 v[30:31], v[36:37], s[36:37]
	v_fma_f64 v[111:112], v[14:15], s[28:29], v[93:94]
	v_add_f64 v[89:90], v[95:96], v[89:90]
	v_mul_f64 v[95:96], v[64:65], s[28:29]
	v_fma_f64 v[121:122], v[12:13], s[36:37], v[103:104]
	v_add_f64 v[81:82], v[105:106], v[81:82]
	v_fma_f64 v[93:94], v[14:15], s[28:29], -v[93:94]
	v_fma_f64 v[129:130], v[60:61], s[28:29], v[101:102]
	v_fma_f64 v[101:102], v[60:61], s[28:29], -v[101:102]
	v_fma_f64 v[103:104], v[12:13], s[36:37], -v[103:104]
	v_add_f64 v[10:11], v[18:19], v[10:11]
	v_add_f64 v[8:9], v[16:17], v[8:9]
	v_mul_f64 v[16:17], v[50:51], s[36:37]
	v_fma_f64 v[18:19], v[62:63], s[20:21], v[20:21]
	v_fma_f64 v[117:118], v[60:61], s[16:17], v[28:29]
	;; [unrolled: 1-line block ×3, first 2 shown]
	v_add_f64 v[89:90], v[109:110], v[89:90]
	v_add_f64 v[91:92], v[111:112], v[91:92]
	v_mul_f64 v[109:110], v[64:65], s[36:37]
	v_fma_f64 v[20:21], v[62:63], s[18:19], v[20:21]
	v_mul_f64 v[111:112], v[46:47], s[20:21]
	v_fma_f64 v[28:29], v[60:61], s[16:17], -v[28:29]
	v_fma_f64 v[125:126], v[62:63], s[30:31], v[95:96]
	v_fma_f64 v[95:96], v[62:63], s[34:35], v[95:96]
	v_add_f64 v[101:102], v[0:1], v[101:102]
	v_add_f64 v[32:33], v[32:33], v[81:82]
	v_mul_f64 v[81:82], v[56:57], s[30:31]
	v_add_f64 v[83:84], v[93:94], v[83:84]
	v_fma_f64 v[30:31], v[24:25], s[38:39], v[30:31]
	v_add_f64 v[6:7], v[10:11], v[6:7]
	v_add_f64 v[4:5], v[8:9], v[4:5]
	v_fma_f64 v[127:128], v[48:49], s[40:41], v[16:17]
	v_add_f64 v[18:19], v[2:3], v[18:19]
	v_fma_f64 v[16:17], v[48:49], s[38:39], v[16:17]
	v_add_f64 v[117:118], v[0:1], v[117:118]
	v_add_f64 v[10:11], v[119:120], v[89:90]
	v_add_f64 v[8:9], v[121:122], v[91:92]
	v_fma_f64 v[89:90], v[62:63], s[38:39], v[109:110]
	v_add_f64 v[20:21], v[2:3], v[20:21]
	v_fma_f64 v[91:92], v[42:43], s[36:37], -v[113:114]
	v_add_f64 v[28:29], v[0:1], v[28:29]
	v_mul_f64 v[113:114], v[58:59], s[22:23]
	v_add_f64 v[119:120], v[2:3], v[125:126]
	v_fma_f64 v[121:122], v[42:43], s[16:17], v[111:112]
	v_add_f64 v[125:126], v[0:1], v[129:130]
	v_add_f64 v[95:96], v[2:3], v[95:96]
	v_fma_f64 v[111:112], v[42:43], s[16:17], -v[111:112]
	v_fma_f64 v[109:110], v[62:63], s[40:41], v[109:110]
	v_add_f64 v[18:19], v[127:128], v[18:19]
	v_fma_f64 v[127:128], v[48:49], s[4:5], v[123:124]
	v_add_f64 v[117:118], v[131:132], v[117:118]
	v_fma_f64 v[123:124], v[48:49], s[6:7], v[123:124]
	v_add_f64 v[89:90], v[2:3], v[89:90]
	v_add_f64 v[16:17], v[16:17], v[20:21]
	v_mul_f64 v[20:21], v[58:59], s[10:11]
	v_add_f64 v[28:29], v[91:92], v[28:29]
	v_mul_f64 v[91:92], v[56:57], s[14:15]
	v_add_f64 v[85:86], v[85:86], v[119:120]
	v_fma_f64 v[119:120], v[44:45], s[24:25], v[113:114]
	v_add_f64 v[121:122], v[121:122], v[125:126]
	v_fma_f64 v[125:126], v[38:39], s[22:23], v[87:88]
	v_add_f64 v[95:96], v[115:116], v[95:96]
	v_mul_f64 v[115:116], v[70:71], s[0:1]
	v_fma_f64 v[113:114], v[44:45], s[26:27], v[113:114]
	v_add_f64 v[101:102], v[111:112], v[101:102]
	v_mul_f64 v[111:112], v[68:69], s[4:5]
	v_fma_f64 v[87:88], v[38:39], s[22:23], -v[87:88]
	v_add_f64 v[109:110], v[2:3], v[109:110]
	v_add_f64 v[89:90], v[127:128], v[89:90]
	v_fma_f64 v[127:128], v[44:45], s[12:13], v[20:21]
	v_fma_f64 v[20:21], v[44:45], s[14:15], v[20:21]
	;; [unrolled: 1-line block ×3, first 2 shown]
	v_fma_f64 v[91:92], v[38:39], s[10:11], -v[91:92]
	v_add_f64 v[18:19], v[119:120], v[18:19]
	v_mul_f64 v[119:120], v[68:69], s[40:41]
	v_add_f64 v[117:118], v[125:126], v[117:118]
	v_mul_f64 v[125:126], v[66:67], s[40:41]
	v_add_f64 v[16:17], v[113:114], v[16:17]
	v_fma_f64 v[113:114], v[40:41], s[6:7], v[115:116]
	v_fma_f64 v[115:116], v[40:41], s[4:5], v[115:116]
	v_add_f64 v[28:29], v[87:88], v[28:29]
	v_fma_f64 v[87:88], v[26:27], s[0:1], v[111:112]
	v_fma_f64 v[111:112], v[26:27], s[0:1], -v[111:112]
	v_add_f64 v[85:86], v[127:128], v[85:86]
	v_mul_f64 v[127:128], v[74:75], s[10:11]
	v_add_f64 v[97:98], v[97:98], v[121:122]
	v_mul_f64 v[121:122], v[72:73], s[14:15]
	v_add_f64 v[20:21], v[20:21], v[95:96]
	v_fma_f64 v[95:96], v[40:41], s[38:39], v[99:100]
	v_add_f64 v[91:92], v[91:92], v[101:102]
	v_mul_f64 v[101:102], v[46:47], s[6:7]
	v_fma_f64 v[105:106], v[26:27], s[36:37], v[119:120]
	v_fma_f64 v[107:108], v[60:61], s[36:37], v[125:126]
	v_add_f64 v[18:19], v[113:114], v[18:19]
	v_mul_f64 v[113:114], v[58:59], s[28:29]
	v_add_f64 v[16:17], v[115:116], v[16:17]
	v_add_f64 v[87:88], v[87:88], v[117:118]
	v_mul_f64 v[115:116], v[74:75], s[0:1]
	v_add_f64 v[28:29], v[111:112], v[28:29]
	v_fma_f64 v[125:126], v[60:61], s[36:37], -v[125:126]
	v_fma_f64 v[99:100], v[40:41], s[40:41], v[99:100]
	v_fma_f64 v[119:120], v[26:27], s[36:37], -v[119:120]
	v_fma_f64 v[117:118], v[22:23], s[12:13], v[127:128]
	v_fma_f64 v[127:128], v[22:23], s[14:15], v[127:128]
	;; [unrolled: 1-line block ×3, first 2 shown]
	v_fma_f64 v[121:122], v[14:15], s[10:11], -v[121:122]
	v_add_f64 v[85:86], v[95:96], v[85:86]
	v_mul_f64 v[95:96], v[72:73], s[4:5]
	v_add_f64 v[97:98], v[105:106], v[97:98]
	v_fma_f64 v[105:106], v[42:43], s[0:1], v[101:102]
	v_add_f64 v[107:108], v[0:1], v[107:108]
	v_fma_f64 v[93:94], v[44:45], s[34:35], v[113:114]
	v_fma_f64 v[101:102], v[42:43], s[0:1], -v[101:102]
	v_add_f64 v[125:126], v[0:1], v[125:126]
	v_add_f64 v[20:21], v[99:100], v[20:21]
	;; [unrolled: 1-line block ×4, first 2 shown]
	v_fma_f64 v[109:110], v[44:45], s[30:31], v[113:114]
	v_add_f64 v[18:19], v[117:118], v[18:19]
	v_mul_f64 v[117:118], v[70:71], s[10:11]
	v_add_f64 v[87:88], v[111:112], v[87:88]
	v_fma_f64 v[111:112], v[22:23], s[6:7], v[115:116]
	v_add_f64 v[16:17], v[127:128], v[16:17]
	v_fma_f64 v[127:128], v[14:15], s[0:1], v[95:96]
	v_add_f64 v[28:29], v[121:122], v[28:29]
	v_mul_f64 v[121:122], v[68:69], s[14:15]
	v_fma_f64 v[95:96], v[14:15], s[0:1], -v[95:96]
	v_add_f64 v[105:106], v[105:106], v[107:108]
	v_fma_f64 v[107:108], v[38:39], s[28:29], v[81:82]
	v_add_f64 v[89:90], v[93:94], v[89:90]
	v_fma_f64 v[81:82], v[38:39], s[28:29], -v[81:82]
	v_add_f64 v[101:102], v[101:102], v[125:126]
	v_mul_f64 v[125:126], v[72:73], s[26:27]
	v_fma_f64 v[93:94], v[40:41], s[12:13], v[117:118]
	v_fma_f64 v[117:118], v[40:41], s[14:15], v[117:118]
	v_add_f64 v[85:86], v[111:112], v[85:86]
	v_mul_f64 v[111:112], v[64:65], s[22:23]
	v_add_f64 v[97:98], v[127:128], v[97:98]
	v_mul_f64 v[127:128], v[66:67], s[26:27]
	v_mul_f64 v[64:65], v[64:65], s[10:11]
	;; [unrolled: 1-line block ×3, first 2 shown]
	v_add_f64 v[91:92], v[95:96], v[91:92]
	v_add_f64 v[105:106], v[107:108], v[105:106]
	v_fma_f64 v[107:108], v[26:27], s[10:11], v[121:122]
	v_fma_f64 v[121:122], v[26:27], s[10:11], -v[121:122]
	v_add_f64 v[81:82], v[81:82], v[101:102]
	v_fma_f64 v[101:102], v[14:15], s[22:23], v[125:126]
	v_add_f64 v[89:90], v[93:94], v[89:90]
	v_fma_f64 v[93:94], v[22:23], s[4:5], v[115:116]
	v_mul_f64 v[115:116], v[50:51], s[28:29]
	v_fma_f64 v[113:114], v[62:63], s[24:25], v[111:112]
	v_fma_f64 v[111:112], v[62:63], s[26:27], v[111:112]
	;; [unrolled: 1-line block ×3, first 2 shown]
	v_fma_f64 v[123:124], v[60:61], s[22:23], -v[127:128]
	v_fma_f64 v[127:128], v[62:63], s[14:15], v[64:65]
	v_fma_f64 v[62:63], v[62:63], s[12:13], v[64:65]
	;; [unrolled: 1-line block ×3, first 2 shown]
	v_add_f64 v[105:106], v[107:108], v[105:106]
	v_mul_f64 v[107:108], v[74:75], s[22:23]
	v_fma_f64 v[60:61], v[60:61], s[10:11], -v[66:67]
	v_mul_f64 v[66:67], v[46:47], s[34:35]
	v_mul_f64 v[50:51], v[50:51], s[22:23]
	;; [unrolled: 1-line block ×3, first 2 shown]
	v_add_f64 v[81:82], v[121:122], v[81:82]
	v_add_f64 v[20:21], v[93:94], v[20:21]
	;; [unrolled: 1-line block ×4, first 2 shown]
	v_fma_f64 v[99:100], v[48:49], s[30:31], v[115:116]
	v_mul_f64 v[109:110], v[58:59], s[0:1]
	v_add_f64 v[113:114], v[0:1], v[119:120]
	v_add_f64 v[119:120], v[0:1], v[123:124]
	;; [unrolled: 1-line block ×5, first 2 shown]
	v_fma_f64 v[127:128], v[22:23], s[24:25], v[107:108]
	v_add_f64 v[2:3], v[2:3], v[62:63]
	v_add_f64 v[0:1], v[0:1], v[60:61]
	v_fma_f64 v[60:61], v[42:43], s[28:29], v[66:67]
	v_mul_f64 v[62:63], v[56:57], s[6:7]
	v_fma_f64 v[115:116], v[48:49], s[34:35], v[115:116]
	v_fma_f64 v[66:67], v[42:43], s[28:29], -v[66:67]
	v_mul_f64 v[58:59], v[58:59], s[36:37]
	v_add_f64 v[101:102], v[101:102], v[105:106]
	v_fma_f64 v[105:106], v[42:43], s[22:23], -v[46:47]
	v_mul_f64 v[56:57], v[56:57], s[40:41]
	v_fma_f64 v[42:43], v[42:43], s[22:23], v[46:47]
	v_mul_f64 v[46:47], v[68:69], s[20:21]
	v_mul_f64 v[68:69], v[68:69], s[34:35]
	v_add_f64 v[93:94], v[117:118], v[93:94]
	v_add_f64 v[95:96], v[99:100], v[95:96]
	v_fma_f64 v[99:100], v[44:45], s[4:5], v[109:110]
	v_fma_f64 v[109:110], v[44:45], s[6:7], v[109:110]
	v_mul_f64 v[117:118], v[36:37], s[28:29]
	v_fma_f64 v[107:108], v[22:23], s[26:27], v[107:108]
	v_add_f64 v[89:90], v[127:128], v[89:90]
	v_fma_f64 v[127:128], v[48:49], s[26:27], v[50:51]
	v_fma_f64 v[48:49], v[48:49], s[24:25], v[50:51]
	v_add_f64 v[60:61], v[60:61], v[113:114]
	v_fma_f64 v[113:114], v[38:39], s[0:1], v[62:63]
	v_add_f64 v[111:112], v[115:116], v[111:112]
	v_mul_f64 v[115:116], v[70:71], s[16:17]
	v_add_f64 v[66:67], v[66:67], v[119:120]
	v_fma_f64 v[62:63], v[38:39], s[0:1], -v[62:63]
	v_mul_f64 v[70:71], v[70:71], s[28:29]
	v_add_f64 v[0:1], v[105:106], v[0:1]
	v_fma_f64 v[105:106], v[38:39], s[36:37], -v[56:57]
	v_fma_f64 v[38:39], v[38:39], s[36:37], v[56:57]
	v_add_f64 v[42:43], v[42:43], v[64:65]
	v_mul_f64 v[56:57], v[74:75], s[36:37]
	v_fma_f64 v[64:65], v[26:27], s[16:17], v[46:47]
	v_add_f64 v[95:96], v[99:100], v[95:96]
	v_fma_f64 v[99:100], v[44:45], s[40:41], v[58:59]
	v_fma_f64 v[44:45], v[44:45], s[38:39], v[58:59]
	v_mul_f64 v[74:75], v[74:75], s[16:17]
	v_fma_f64 v[46:47], v[26:27], s[16:17], -v[46:47]
	v_mul_f64 v[50:51], v[34:35], s[34:35]
	v_fma_f64 v[119:120], v[14:15], s[22:23], -v[125:126]
	v_add_f64 v[2:3], v[127:128], v[2:3]
	v_add_f64 v[48:49], v[48:49], v[123:124]
	v_fma_f64 v[58:59], v[24:25], s[30:31], v[117:118]
	v_add_f64 v[60:61], v[113:114], v[60:61]
	v_add_f64 v[109:110], v[109:110], v[111:112]
	v_fma_f64 v[111:112], v[40:41], s[18:19], v[115:116]
	v_fma_f64 v[115:116], v[40:41], s[20:21], v[115:116]
	v_add_f64 v[62:63], v[62:63], v[66:67]
	v_mul_f64 v[66:67], v[72:73], s[38:39]
	v_mul_f64 v[72:73], v[72:73], s[18:19]
	v_add_f64 v[0:1], v[105:106], v[0:1]
	v_fma_f64 v[105:106], v[26:27], s[28:29], -v[68:69]
	v_fma_f64 v[26:27], v[26:27], s[28:29], v[68:69]
	v_add_f64 v[38:39], v[38:39], v[42:43]
	v_mul_f64 v[68:69], v[34:35], s[18:19]
	v_fma_f64 v[42:43], v[22:23], s[40:41], v[56:57]
	v_fma_f64 v[56:57], v[22:23], s[38:39], v[56:57]
	;; [unrolled: 1-line block ×4, first 2 shown]
	v_fma_f64 v[50:51], v[12:13], s[28:29], -v[50:51]
	v_add_f64 v[2:3], v[99:100], v[2:3]
	v_fma_f64 v[99:100], v[40:41], s[34:35], v[70:71]
	v_fma_f64 v[40:41], v[40:41], s[30:31], v[70:71]
	v_add_f64 v[44:45], v[44:45], v[48:49]
	v_mul_f64 v[48:49], v[36:37], s[16:17]
	v_add_f64 v[95:96], v[111:112], v[95:96]
	v_mul_f64 v[111:112], v[36:37], s[22:23]
	;; [unrolled: 2-line block ×4, first 2 shown]
	v_add_f64 v[0:1], v[105:106], v[0:1]
	v_fma_f64 v[105:106], v[14:15], s[16:17], -v[72:73]
	v_mul_f64 v[115:116], v[34:35], s[6:7]
	v_mul_f64 v[70:71], v[34:35], s[24:25]
	v_add_f64 v[46:47], v[46:47], v[62:63]
	v_fma_f64 v[62:63], v[14:15], s[36:37], -v[66:67]
	v_mul_f64 v[34:35], v[34:35], s[14:15]
	v_fma_f64 v[66:67], v[14:15], s[36:37], v[66:67]
	v_fma_f64 v[14:15], v[14:15], s[16:17], v[72:73]
	v_add_f64 v[26:27], v[26:27], v[38:39]
	v_add_f64 v[38:39], v[107:108], v[93:94]
	v_fma_f64 v[121:122], v[12:13], s[16:17], v[68:69]
	v_add_f64 v[2:3], v[99:100], v[2:3]
	v_fma_f64 v[99:100], v[22:23], s[18:19], v[74:75]
	v_fma_f64 v[22:23], v[22:23], s[20:21], v[74:75]
	v_add_f64 v[40:41], v[40:41], v[44:45]
	v_fma_f64 v[72:73], v[24:25], s[20:21], v[48:49]
	v_fma_f64 v[48:49], v[24:25], s[18:19], v[48:49]
	v_add_f64 v[81:82], v[119:120], v[81:82]
	v_fma_f64 v[68:69], v[12:13], s[16:17], -v[68:69]
	v_add_f64 v[56:57], v[56:57], v[109:110]
	v_fma_f64 v[74:75], v[24:25], s[26:27], v[111:112]
	v_fma_f64 v[111:112], v[24:25], s[24:25], v[111:112]
	v_add_f64 v[95:96], v[42:43], v[95:96]
	v_fma_f64 v[107:108], v[12:13], s[0:1], -v[115:116]
	v_fma_f64 v[44:45], v[12:13], s[22:23], v[70:71]
	v_fma_f64 v[70:71], v[12:13], s[22:23], -v[70:71]
	v_add_f64 v[46:47], v[62:63], v[46:47]
	v_fma_f64 v[62:63], v[24:25], s[14:15], v[64:65]
	v_fma_f64 v[109:110], v[12:13], s[10:11], -v[34:35]
	v_add_f64 v[60:61], v[66:67], v[60:61]
	v_fma_f64 v[64:65], v[24:25], s[12:13], v[64:65]
	v_fma_f64 v[66:67], v[12:13], s[10:11], v[34:35]
	v_fma_f64 v[119:120], v[24:25], s[4:5], v[36:37]
	v_fma_f64 v[115:116], v[12:13], s[0:1], v[115:116]
	v_add_f64 v[93:94], v[99:100], v[2:3]
	v_add_f64 v[99:100], v[105:106], v[0:1]
	v_fma_f64 v[105:106], v[24:25], s[6:7], v[36:37]
	v_add_f64 v[123:124], v[22:23], v[40:41]
	v_add_f64 v[125:126], v[14:15], v[26:27]
	;; [unrolled: 1-line block ×24, first 2 shown]
	v_mul_u32_u24_e32 v56, 0xc0, v52
	v_add3_u32 v53, v53, v56, v80
	ds_write_b128 v53, v[4:7]
	ds_write_b128 v53, v[36:39] offset:16
	ds_write_b128 v53, v[32:35] offset:32
	;; [unrolled: 1-line block ×12, first 2 shown]
.LBB0_13:
	s_or_b32 exec_lo, exec_lo, s33
	v_add_nc_u32_e32 v2, 26, v52
	v_add_nc_u16 v5, v52, 52
	v_add_nc_u32_e32 v1, -13, v52
	v_cmp_gt_u32_e64 s0, 13, v52
	s_waitcnt lgkmcnt(0)
	v_and_b32_e32 v0, 0xff, v2
	v_and_b32_e32 v3, 0xff, v5
	s_barrier
	v_cndmask_b32_e64 v51, v1, v52, s0
	v_mov_b32_e32 v1, 0
	v_mul_lo_u16 v0, 0x4f, v0
	v_mul_lo_u16 v3, 0x4f, v3
	buffer_gl0_inv
	s_mov_b32 s5, 0xbfebb67a
	v_lshrrev_b16 v53, 10, v0
	v_mul_i32_i24_e32 v0, 3, v51
	v_lshrrev_b16 v115, 10, v3
	v_mul_lo_u16 v6, v53, 13
	v_lshlrev_b64 v[3:4], 4, v[0:1]
	v_mov_b32_e32 v0, 3
	v_mul_lo_u16 v7, v115, 13
	v_sub_nc_u16 v116, v2, v6
	v_add_co_u32 v11, s0, s8, v3
	v_sub_nc_u16 v117, v5, v7
	v_mul_u32_u24_sdwa v13, v116, v0 dst_sel:DWORD dst_unused:UNUSED_PAD src0_sel:BYTE_0 src1_sel:DWORD
	v_add_co_ci_u32_e64 v12, s0, s9, v4, s0
	s_clause 0x1
	global_load_dwordx4 v[3:6], v[11:12], off offset:16
	global_load_dwordx4 v[7:10], v[11:12], off
	v_lshlrev_b32_e32 v23, 4, v13
	v_mul_u32_u24_sdwa v0, v117, v0 dst_sel:DWORD dst_unused:UNUSED_PAD src0_sel:BYTE_0 src1_sel:DWORD
	s_clause 0x1
	global_load_dwordx4 v[11:14], v[11:12], off offset:32
	global_load_dwordx4 v[15:18], v23, s[8:9]
	v_cmp_lt_u32_e64 s0, 12, v52
	v_lshlrev_b32_e32 v0, 4, v0
	s_clause 0x4
	global_load_dwordx4 v[19:22], v23, s[8:9] offset:16
	global_load_dwordx4 v[23:26], v23, s[8:9] offset:32
	global_load_dwordx4 v[27:30], v0, s[8:9]
	global_load_dwordx4 v[31:34], v0, s[8:9] offset:16
	global_load_dwordx4 v[35:38], v0, s[8:9] offset:32
	ds_read_b128 v[39:42], v79 offset:1248
	ds_read_b128 v[43:46], v79 offset:2496
	;; [unrolled: 1-line block ×10, first 2 shown]
	ds_read_b128 v[89:92], v76
	ds_read_b128 v[93:96], v79 offset:416
	v_cndmask_b32_e64 v0, 0, 0x340, s0
	s_waitcnt vmcnt(0) lgkmcnt(0)
	s_barrier
	buffer_gl0_inv
	v_mul_f64 v[99:100], v[45:46], v[5:6]
	v_mul_f64 v[97:98], v[41:42], v[9:10]
	;; [unrolled: 1-line block ×18, first 2 shown]
	v_fma_f64 v[39:40], v[39:40], v[7:8], -v[97:98]
	v_fma_f64 v[7:8], v[41:42], v[7:8], v[9:10]
	v_fma_f64 v[9:10], v[43:44], v[3:4], -v[99:100]
	v_fma_f64 v[3:4], v[45:46], v[3:4], v[5:6]
	;; [unrolled: 2-line block ×9, first 2 shown]
	v_add_f64 v[37:38], v[89:90], -v[9:10]
	v_add_f64 v[41:42], v[91:92], -v[3:4]
	;; [unrolled: 1-line block ×12, first 2 shown]
	v_add_nc_u32_e32 v33, 0, v0
	v_lshlrev_b32_e32 v0, 1, v52
	v_fma_f64 v[56:57], v[89:90], 2.0, -v[37:38]
	v_fma_f64 v[58:59], v[91:92], 2.0, -v[41:42]
	;; [unrolled: 1-line block ×4, first 2 shown]
	v_add_f64 v[3:4], v[37:38], -v[3:4]
	v_add_f64 v[5:6], v[41:42], v[5:6]
	v_fma_f64 v[60:61], v[93:94], 2.0, -v[43:44]
	v_fma_f64 v[62:63], v[95:96], 2.0, -v[45:46]
	;; [unrolled: 1-line block ×4, first 2 shown]
	v_add_f64 v[7:8], v[43:44], -v[11:12]
	v_add_f64 v[9:10], v[45:46], v[9:10]
	v_fma_f64 v[64:65], v[85:86], 2.0, -v[47:48]
	v_fma_f64 v[66:67], v[87:88], 2.0, -v[49:50]
	;; [unrolled: 1-line block ×4, first 2 shown]
	v_add_f64 v[13:14], v[49:50], v[17:18]
	v_add_f64 v[11:12], v[47:48], -v[19:20]
	v_lshlrev_b64 v[68:69], 4, v[0:1]
	v_lshlrev_b32_e32 v0, 1, v2
	v_mov_b32_e32 v2, 4
	v_lshlrev_b64 v[70:71], 4, v[0:1]
	v_add_f64 v[15:16], v[56:57], -v[21:22]
	v_add_f64 v[17:18], v[58:59], -v[23:24]
	v_lshlrev_b32_sdwa v0, v2, v116 dst_sel:DWORD dst_unused:UNUSED_PAD src0_sel:DWORD src1_sel:BYTE_0
	v_lshlrev_b32_sdwa v2, v2, v117 dst_sel:DWORD dst_unused:UNUSED_PAD src0_sel:DWORD src1_sel:BYTE_0
	v_add_f64 v[19:20], v[60:61], -v[29:30]
	v_add_f64 v[21:22], v[62:63], -v[31:32]
	v_and_b32_e32 v29, 0xffff, v115
	v_fma_f64 v[31:32], v[43:44], 2.0, -v[7:8]
	v_add_f64 v[23:24], v[64:65], -v[25:26]
	v_add_f64 v[25:26], v[66:67], -v[27:28]
	v_lshlrev_b32_e32 v27, 4, v51
	v_and_b32_e32 v28, 0xffff, v53
	v_mad_u32_u24 v72, 0x340, v29, 0
	v_fma_f64 v[29:30], v[41:42], 2.0, -v[5:6]
	v_fma_f64 v[35:36], v[47:48], 2.0, -v[11:12]
	v_add3_u32 v51, v33, v27, v80
	v_mad_u32_u24 v53, 0x340, v28, 0
	v_fma_f64 v[27:28], v[37:38], 2.0, -v[3:4]
	v_fma_f64 v[33:34], v[45:46], 2.0, -v[9:10]
	;; [unrolled: 1-line block ×5, first 2 shown]
	v_add_co_u32 v56, s0, s8, v68
	v_fma_f64 v[43:44], v[60:61], 2.0, -v[19:20]
	v_fma_f64 v[45:46], v[62:63], 2.0, -v[21:22]
	v_add_co_ci_u32_e64 v57, s0, s9, v69, s0
	v_add_co_u32 v58, s0, s8, v70
	v_fma_f64 v[47:48], v[64:65], 2.0, -v[23:24]
	v_fma_f64 v[49:50], v[66:67], 2.0, -v[25:26]
	v_add_co_ci_u32_e64 v59, s0, s9, v71, s0
	v_add3_u32 v0, v53, v0, v80
	v_add3_u32 v2, v72, v2, v80
	ds_write_b128 v51, v[3:6] offset:624
	ds_write_b128 v51, v[27:30] offset:208
	;; [unrolled: 1-line block ×3, first 2 shown]
	ds_write_b128 v51, v[39:42]
	ds_write_b128 v0, v[31:34] offset:208
	ds_write_b128 v0, v[19:22] offset:416
	;; [unrolled: 1-line block ×3, first 2 shown]
	ds_write_b128 v0, v[43:46]
	ds_write_b128 v2, v[47:50]
	ds_write_b128 v2, v[35:38] offset:208
	ds_write_b128 v2, v[23:26] offset:416
	;; [unrolled: 1-line block ×3, first 2 shown]
	s_waitcnt lgkmcnt(0)
	s_barrier
	buffer_gl0_inv
	s_clause 0x3
	global_load_dwordx4 v[2:5], v[56:57], off offset:624
	global_load_dwordx4 v[6:9], v[56:57], off offset:640
	;; [unrolled: 1-line block ×4, first 2 shown]
	ds_read_b128 v[18:21], v79 offset:1664
	ds_read_b128 v[22:25], v79 offset:3328
	;; [unrolled: 1-line block ×8, first 2 shown]
	v_mov_b32_e32 v53, v1
	s_mov_b32 s0, 0xe8584caa
	s_mov_b32 s1, 0x3febb67a
	;; [unrolled: 1-line block ×3, first 2 shown]
	s_waitcnt vmcnt(3) lgkmcnt(7)
	v_mul_f64 v[50:51], v[20:21], v[4:5]
	v_mul_f64 v[56:57], v[18:19], v[4:5]
	s_waitcnt vmcnt(2) lgkmcnt(6)
	v_mul_f64 v[58:59], v[24:25], v[8:9]
	v_mul_f64 v[60:61], v[22:23], v[8:9]
	;; [unrolled: 3-line block ×4, first 2 shown]
	s_waitcnt lgkmcnt(3)
	v_mul_f64 v[70:71], v[36:37], v[4:5]
	v_mul_f64 v[4:5], v[34:35], v[4:5]
	s_waitcnt lgkmcnt(2)
	v_mul_f64 v[72:73], v[40:41], v[8:9]
	v_mul_f64 v[8:9], v[38:39], v[8:9]
	s_waitcnt lgkmcnt(1)
	v_mul_f64 v[74:75], v[44:45], v[12:13]
	s_waitcnt lgkmcnt(0)
	v_mul_f64 v[80:81], v[48:49], v[16:17]
	v_mul_f64 v[12:13], v[42:43], v[12:13]
	;; [unrolled: 1-line block ×3, first 2 shown]
	v_fma_f64 v[50:51], v[18:19], v[2:3], -v[50:51]
	v_fma_f64 v[56:57], v[20:21], v[2:3], v[56:57]
	v_fma_f64 v[22:23], v[22:23], v[6:7], -v[58:59]
	v_fma_f64 v[24:25], v[24:25], v[6:7], v[60:61]
	;; [unrolled: 2-line block ×6, first 2 shown]
	v_fma_f64 v[6:7], v[42:43], v[10:11], -v[74:75]
	v_fma_f64 v[42:43], v[46:47], v[14:15], -v[80:81]
	v_fma_f64 v[44:45], v[44:45], v[10:11], v[12:13]
	v_fma_f64 v[46:47], v[48:49], v[14:15], v[16:17]
	ds_read_b128 v[2:5], v76
	ds_read_b128 v[10:13], v79 offset:416
	ds_read_b128 v[14:17], v79 offset:832
	;; [unrolled: 1-line block ×3, first 2 shown]
	v_lshlrev_b64 v[8:9], 4, v[52:53]
	s_waitcnt lgkmcnt(0)
	s_barrier
	buffer_gl0_inv
	v_add_f64 v[48:49], v[50:51], v[22:23]
	v_add_f64 v[0:1], v[56:57], v[24:25]
	v_add_f64 v[68:69], v[56:57], -v[24:25]
	v_add_f64 v[58:59], v[26:27], v[30:31]
	v_add_f64 v[60:61], v[28:29], v[32:33]
	v_add_f64 v[92:93], v[26:27], -v[30:31]
	;; [unrolled: 3-line block ×3, first 2 shown]
	v_add_f64 v[70:71], v[6:7], v[42:43]
	v_add_f64 v[64:65], v[2:3], v[50:51]
	;; [unrolled: 1-line block ×10, first 2 shown]
	v_add_f64 v[50:51], v[50:51], -v[22:23]
	v_fma_f64 v[48:49], v[48:49], -0.5, v[2:3]
	v_fma_f64 v[90:91], v[0:1], -0.5, v[4:5]
	v_add_f64 v[28:29], v[28:29], -v[32:33]
	v_add_f64 v[36:37], v[36:37], -v[40:41]
	v_fma_f64 v[58:59], v[58:59], -0.5, v[10:11]
	v_fma_f64 v[60:61], v[60:61], -0.5, v[12:13]
	v_add_f64 v[44:45], v[44:45], -v[46:47]
	v_add_f64 v[96:97], v[6:7], -v[42:43]
	v_fma_f64 v[62:63], v[62:63], -0.5, v[14:15]
	v_fma_f64 v[66:67], v[66:67], -0.5, v[16:17]
	;; [unrolled: 1-line block ×3, first 2 shown]
	v_add_f64 v[0:1], v[64:65], v[22:23]
	v_fma_f64 v[64:65], v[72:73], -0.5, v[20:21]
	v_add_f64 v[2:3], v[56:57], v[24:25]
	v_add_f64 v[4:5], v[74:75], v[30:31]
	;; [unrolled: 1-line block ×7, first 2 shown]
	v_fma_f64 v[18:19], v[68:69], s[0:1], v[48:49]
	v_fma_f64 v[20:21], v[50:51], s[4:5], v[90:91]
	;; [unrolled: 1-line block ×16, first 2 shown]
	v_add_co_u32 v53, s0, s8, v8
	v_add_co_ci_u32_e64 v56, s0, s9, v9, s0
	ds_write_b128 v79, v[0:3]
	ds_write_b128 v79, v[4:7] offset:416
	ds_write_b128 v79, v[10:13] offset:2496
	;; [unrolled: 1-line block ×11, first 2 shown]
	v_add_co_u32 v50, s0, 0x800, v53
	v_add_co_ci_u32_e64 v51, s0, 0, v56, s0
	v_add_co_u32 v22, s0, 0x1000, v53
	s_waitcnt lgkmcnt(0)
	s_barrier
	buffer_gl0_inv
	s_clause 0x2
	global_load_dwordx4 v[0:3], v[50:51], off offset:240
	global_load_dwordx4 v[4:7], v[50:51], off offset:656
	;; [unrolled: 1-line block ×3, first 2 shown]
	v_add_co_ci_u32_e64 v23, s0, 0, v56, s0
	s_clause 0x2
	global_load_dwordx4 v[14:17], v[50:51], off offset:1488
	global_load_dwordx4 v[18:21], v[50:51], off offset:1904
	global_load_dwordx4 v[22:25], v[22:23], off offset:272
	ds_read_b128 v[26:29], v79 offset:2496
	ds_read_b128 v[30:33], v79 offset:2912
	;; [unrolled: 1-line block ×6, first 2 shown]
	ds_read_b128 v[56:59], v76
	ds_read_b128 v[60:63], v79 offset:416
	ds_read_b128 v[64:67], v79 offset:832
	;; [unrolled: 1-line block ×3, first 2 shown]
	s_add_u32 s1, s8, 0x12b0
	s_addc_u32 s4, s9, 0
	s_mov_b32 s5, exec_lo
	s_waitcnt vmcnt(5) lgkmcnt(9)
	v_mul_f64 v[50:51], v[28:29], v[2:3]
	v_mul_f64 v[2:3], v[26:27], v[2:3]
	s_waitcnt vmcnt(4) lgkmcnt(8)
	v_mul_f64 v[72:73], v[32:33], v[6:7]
	v_mul_f64 v[6:7], v[30:31], v[6:7]
	;; [unrolled: 3-line block ×6, first 2 shown]
	v_fma_f64 v[26:27], v[26:27], v[0:1], -v[50:51]
	v_fma_f64 v[28:29], v[28:29], v[0:1], v[2:3]
	v_fma_f64 v[30:31], v[30:31], v[4:5], -v[72:73]
	v_fma_f64 v[32:33], v[32:33], v[4:5], v[6:7]
	v_fma_f64 v[34:35], v[34:35], v[10:11], -v[74:75]
	v_fma_f64 v[36:37], v[36:37], v[10:11], v[12:13]
	v_fma_f64 v[38:39], v[38:39], v[14:15], -v[80:81]
	v_fma_f64 v[40:41], v[40:41], v[14:15], v[16:17]
	v_fma_f64 v[42:43], v[42:43], v[18:19], -v[82:83]
	v_fma_f64 v[44:45], v[44:45], v[18:19], v[20:21]
	v_fma_f64 v[46:47], v[46:47], v[22:23], -v[84:85]
	v_fma_f64 v[48:49], v[48:49], v[22:23], v[24:25]
	ds_read_b128 v[0:3], v79 offset:1664
	ds_read_b128 v[4:7], v79 offset:2080
	s_waitcnt lgkmcnt(0)
	s_barrier
	buffer_gl0_inv
	v_add_f64 v[10:11], v[56:57], -v[26:27]
	v_add_f64 v[12:13], v[58:59], -v[28:29]
	;; [unrolled: 1-line block ×12, first 2 shown]
	v_fma_f64 v[34:35], v[56:57], 2.0, -v[10:11]
	v_fma_f64 v[36:37], v[58:59], 2.0, -v[12:13]
	;; [unrolled: 1-line block ×12, first 2 shown]
	ds_write_b128 v79, v[10:13] offset:2496
	ds_write_b128 v79, v[14:17] offset:2912
	;; [unrolled: 1-line block ×6, first 2 shown]
	ds_write_b128 v79, v[34:37]
	ds_write_b128 v79, v[38:41] offset:416
	ds_write_b128 v79, v[42:45] offset:832
	;; [unrolled: 1-line block ×5, first 2 shown]
	s_waitcnt lgkmcnt(0)
	s_barrier
	buffer_gl0_inv
	ds_read_b128 v[4:7], v76
	v_sub_nc_u32_e32 v14, v78, v77
                                        ; implicit-def: $vgpr0_vgpr1
                                        ; implicit-def: $vgpr10_vgpr11
                                        ; implicit-def: $vgpr12_vgpr13
	v_cmpx_ne_u32_e32 0, v52
	s_xor_b32 s5, exec_lo, s5
	s_cbranch_execz .LBB0_15
; %bb.14:
	v_add_co_u32 v0, s0, s1, v8
	v_add_co_ci_u32_e64 v1, s0, s4, v9, s0
                                        ; implicit-def: $vgpr78
	global_load_dwordx4 v[15:18], v[0:1], off
	ds_read_b128 v[0:3], v14 offset:4992
	s_waitcnt lgkmcnt(0)
	v_add_f64 v[10:11], v[4:5], -v[0:1]
	v_add_f64 v[12:13], v[6:7], v[2:3]
	v_add_f64 v[2:3], v[6:7], -v[2:3]
	v_add_f64 v[0:1], v[4:5], v[0:1]
	v_mul_f64 v[6:7], v[10:11], 0.5
	v_mul_f64 v[4:5], v[12:13], 0.5
	;; [unrolled: 1-line block ×3, first 2 shown]
	s_waitcnt vmcnt(0)
	v_mul_f64 v[10:11], v[6:7], v[17:18]
	v_fma_f64 v[12:13], v[4:5], v[17:18], v[2:3]
	v_fma_f64 v[2:3], v[4:5], v[17:18], -v[2:3]
	v_fma_f64 v[19:20], v[0:1], 0.5, v[10:11]
	v_fma_f64 v[0:1], v[0:1], 0.5, -v[10:11]
	v_fma_f64 v[12:13], -v[15:16], v[6:7], v[12:13]
	v_fma_f64 v[2:3], -v[15:16], v[6:7], v[2:3]
	v_fma_f64 v[10:11], v[4:5], v[15:16], v[19:20]
	v_fma_f64 v[0:1], -v[4:5], v[15:16], v[0:1]
                                        ; implicit-def: $vgpr4_vgpr5
.LBB0_15:
	s_andn2_saveexec_b32 s0, s5
	s_cbranch_execz .LBB0_17
; %bb.16:
	ds_read_b64 v[15:16], v78 offset:2504
	s_waitcnt lgkmcnt(1)
	v_add_f64 v[10:11], v[4:5], v[6:7]
	v_add_f64 v[0:1], v[4:5], -v[6:7]
	v_mov_b32_e32 v12, 0
	v_mov_b32_e32 v13, 0
	;; [unrolled: 1-line block ×4, first 2 shown]
	s_waitcnt lgkmcnt(0)
	v_xor_b32_e32 v16, 0x80000000, v16
	ds_write_b64 v78, v[15:16] offset:2504
.LBB0_17:
	s_or_b32 exec_lo, exec_lo, s0
	v_add_co_u32 v23, s0, s1, v8
	v_add_co_ci_u32_e64 v24, s0, s4, v9, s0
	s_waitcnt lgkmcnt(0)
	s_clause 0x1
	global_load_dwordx4 v[4:7], v[23:24], off offset:416
	global_load_dwordx4 v[15:18], v[23:24], off offset:832
	ds_write2_b64 v76, v[10:11], v[12:13] offset1:1
	ds_write_b128 v14, v[0:3] offset:4992
	ds_read_b128 v[0:3], v76 offset:416
	ds_read_b128 v[10:13], v14 offset:4576
	global_load_dwordx4 v[19:22], v[23:24], off offset:1248
	s_waitcnt lgkmcnt(0)
	v_add_f64 v[25:26], v[0:1], -v[10:11]
	v_add_f64 v[27:28], v[2:3], v[12:13]
	v_add_f64 v[2:3], v[2:3], -v[12:13]
	v_add_f64 v[0:1], v[0:1], v[10:11]
	v_mul_f64 v[12:13], v[25:26], 0.5
	v_mul_f64 v[25:26], v[27:28], 0.5
	;; [unrolled: 1-line block ×3, first 2 shown]
	s_waitcnt vmcnt(2)
	v_mul_f64 v[10:11], v[12:13], v[6:7]
	v_fma_f64 v[27:28], v[25:26], v[6:7], v[2:3]
	v_fma_f64 v[2:3], v[25:26], v[6:7], -v[2:3]
	v_fma_f64 v[6:7], v[0:1], 0.5, v[10:11]
	v_fma_f64 v[0:1], v[0:1], 0.5, -v[10:11]
	v_fma_f64 v[10:11], -v[4:5], v[12:13], v[27:28]
	v_fma_f64 v[2:3], -v[4:5], v[12:13], v[2:3]
	v_fma_f64 v[6:7], v[25:26], v[4:5], v[6:7]
	v_fma_f64 v[0:1], -v[25:26], v[4:5], v[0:1]
	ds_write2_b64 v76, v[6:7], v[10:11] offset0:52 offset1:53
	ds_write_b128 v14, v[0:3] offset:4576
	ds_read_b128 v[0:3], v76 offset:832
	ds_read_b128 v[4:7], v14 offset:4160
	global_load_dwordx4 v[10:13], v[23:24], off offset:1664
	s_waitcnt lgkmcnt(0)
	v_add_f64 v[25:26], v[0:1], -v[4:5]
	v_add_f64 v[27:28], v[2:3], v[6:7]
	v_add_f64 v[2:3], v[2:3], -v[6:7]
	v_add_f64 v[0:1], v[0:1], v[4:5]
	v_mul_f64 v[6:7], v[25:26], 0.5
	v_mul_f64 v[25:26], v[27:28], 0.5
	;; [unrolled: 1-line block ×3, first 2 shown]
	s_waitcnt vmcnt(2)
	v_mul_f64 v[4:5], v[6:7], v[17:18]
	v_fma_f64 v[27:28], v[25:26], v[17:18], v[2:3]
	v_fma_f64 v[2:3], v[25:26], v[17:18], -v[2:3]
	v_fma_f64 v[17:18], v[0:1], 0.5, v[4:5]
	v_fma_f64 v[0:1], v[0:1], 0.5, -v[4:5]
	v_fma_f64 v[4:5], -v[15:16], v[6:7], v[27:28]
	v_fma_f64 v[2:3], -v[15:16], v[6:7], v[2:3]
	v_fma_f64 v[6:7], v[25:26], v[15:16], v[17:18]
	v_fma_f64 v[0:1], -v[25:26], v[15:16], v[0:1]
	v_add_co_u32 v15, s0, 0x800, v23
	v_add_co_ci_u32_e64 v16, s0, 0, v24, s0
	ds_write2_b64 v76, v[6:7], v[4:5] offset0:104 offset1:105
	ds_write_b128 v14, v[0:3] offset:4160
	ds_read_b128 v[0:3], v76 offset:1248
	ds_read_b128 v[4:7], v14 offset:3744
	global_load_dwordx4 v[15:18], v[15:16], off offset:32
	s_waitcnt lgkmcnt(0)
	v_add_f64 v[23:24], v[0:1], -v[4:5]
	v_add_f64 v[25:26], v[2:3], v[6:7]
	v_add_f64 v[2:3], v[2:3], -v[6:7]
	v_add_f64 v[0:1], v[0:1], v[4:5]
	v_mul_f64 v[6:7], v[23:24], 0.5
	v_mul_f64 v[23:24], v[25:26], 0.5
	;; [unrolled: 1-line block ×3, first 2 shown]
	s_waitcnt vmcnt(2)
	v_mul_f64 v[4:5], v[6:7], v[21:22]
	v_fma_f64 v[25:26], v[23:24], v[21:22], v[2:3]
	v_fma_f64 v[2:3], v[23:24], v[21:22], -v[2:3]
	v_fma_f64 v[21:22], v[0:1], 0.5, v[4:5]
	v_fma_f64 v[0:1], v[0:1], 0.5, -v[4:5]
	v_fma_f64 v[4:5], -v[19:20], v[6:7], v[25:26]
	v_fma_f64 v[2:3], -v[19:20], v[6:7], v[2:3]
	v_fma_f64 v[6:7], v[23:24], v[19:20], v[21:22]
	v_fma_f64 v[0:1], -v[23:24], v[19:20], v[0:1]
	ds_write2_b64 v76, v[6:7], v[4:5] offset0:156 offset1:157
	ds_write_b128 v14, v[0:3] offset:3744
	ds_read_b128 v[0:3], v76 offset:1664
	ds_read_b128 v[4:7], v14 offset:3328
	s_waitcnt lgkmcnt(0)
	v_add_f64 v[19:20], v[0:1], -v[4:5]
	v_add_f64 v[21:22], v[2:3], v[6:7]
	v_add_f64 v[2:3], v[2:3], -v[6:7]
	v_add_f64 v[0:1], v[0:1], v[4:5]
	v_mul_f64 v[6:7], v[19:20], 0.5
	v_mul_f64 v[19:20], v[21:22], 0.5
	;; [unrolled: 1-line block ×3, first 2 shown]
	s_waitcnt vmcnt(1)
	v_mul_f64 v[4:5], v[6:7], v[12:13]
	v_fma_f64 v[21:22], v[19:20], v[12:13], v[2:3]
	v_fma_f64 v[2:3], v[19:20], v[12:13], -v[2:3]
	v_fma_f64 v[12:13], v[0:1], 0.5, v[4:5]
	v_fma_f64 v[0:1], v[0:1], 0.5, -v[4:5]
	v_fma_f64 v[4:5], -v[10:11], v[6:7], v[21:22]
	v_fma_f64 v[2:3], -v[10:11], v[6:7], v[2:3]
	v_fma_f64 v[6:7], v[19:20], v[10:11], v[12:13]
	v_fma_f64 v[0:1], -v[19:20], v[10:11], v[0:1]
	ds_write2_b64 v76, v[6:7], v[4:5] offset0:208 offset1:209
	ds_write_b128 v14, v[0:3] offset:3328
	ds_read_b128 v[0:3], v76 offset:2080
	ds_read_b128 v[4:7], v14 offset:2912
	s_waitcnt lgkmcnt(0)
	v_add_f64 v[10:11], v[0:1], -v[4:5]
	v_add_f64 v[12:13], v[2:3], v[6:7]
	v_add_f64 v[2:3], v[2:3], -v[6:7]
	v_add_f64 v[0:1], v[0:1], v[4:5]
	v_mul_f64 v[6:7], v[10:11], 0.5
	v_mul_f64 v[10:11], v[12:13], 0.5
	;; [unrolled: 1-line block ×3, first 2 shown]
	s_waitcnt vmcnt(0)
	v_mul_f64 v[4:5], v[6:7], v[17:18]
	v_fma_f64 v[12:13], v[10:11], v[17:18], v[2:3]
	v_fma_f64 v[2:3], v[10:11], v[17:18], -v[2:3]
	v_fma_f64 v[17:18], v[0:1], 0.5, v[4:5]
	v_fma_f64 v[0:1], v[0:1], 0.5, -v[4:5]
	v_fma_f64 v[4:5], -v[15:16], v[6:7], v[12:13]
	v_fma_f64 v[2:3], -v[15:16], v[6:7], v[2:3]
	v_fma_f64 v[6:7], v[10:11], v[15:16], v[17:18]
	v_fma_f64 v[0:1], -v[10:11], v[15:16], v[0:1]
	v_add_nc_u32_e32 v10, 0x800, v76
	ds_write2_b64 v10, v[6:7], v[4:5] offset0:4 offset1:5
	ds_write_b128 v14, v[0:3] offset:2912
	s_waitcnt lgkmcnt(0)
	s_barrier
	buffer_gl0_inv
	s_and_saveexec_b32 s0, vcc_lo
	s_cbranch_execz .LBB0_20
; %bb.18:
	ds_read_b128 v[2:5], v76
	v_add_co_u32 v0, vcc_lo, s2, v54
	v_add_co_ci_u32_e32 v1, vcc_lo, s3, v55, vcc_lo
	ds_read_b128 v[10:13], v76 offset:416
	ds_read_b128 v[14:17], v76 offset:832
	;; [unrolled: 1-line block ×7, first 2 shown]
	v_add_co_u32 v50, vcc_lo, v0, v8
	v_add_co_ci_u32_e32 v51, vcc_lo, v1, v9, vcc_lo
	ds_read_b128 v[6:9], v76 offset:3328
	ds_read_b128 v[38:41], v76 offset:3744
	;; [unrolled: 1-line block ×4, first 2 shown]
	s_waitcnt lgkmcnt(11)
	global_store_dwordx4 v[50:51], v[2:5], off
	v_add_co_u32 v2, vcc_lo, 0x800, v50
	v_add_co_ci_u32_e32 v3, vcc_lo, 0, v51, vcc_lo
	v_add_co_u32 v4, vcc_lo, 0x1000, v50
	v_add_co_ci_u32_e32 v5, vcc_lo, 0, v51, vcc_lo
	v_cmp_eq_u32_e32 vcc_lo, 25, v52
	s_waitcnt lgkmcnt(10)
	global_store_dwordx4 v[50:51], v[10:13], off offset:416
	s_waitcnt lgkmcnt(9)
	global_store_dwordx4 v[50:51], v[14:17], off offset:832
	s_waitcnt lgkmcnt(8)
	global_store_dwordx4 v[50:51], v[18:21], off offset:1248
	s_waitcnt lgkmcnt(7)
	global_store_dwordx4 v[50:51], v[22:25], off offset:1664
	s_waitcnt lgkmcnt(6)
	global_store_dwordx4 v[2:3], v[26:29], off offset:32
	s_waitcnt lgkmcnt(5)
	global_store_dwordx4 v[2:3], v[30:33], off offset:448
	s_waitcnt lgkmcnt(4)
	global_store_dwordx4 v[2:3], v[34:37], off offset:864
	s_waitcnt lgkmcnt(3)
	global_store_dwordx4 v[2:3], v[6:9], off offset:1280
	s_waitcnt lgkmcnt(2)
	global_store_dwordx4 v[2:3], v[38:41], off offset:1696
	s_waitcnt lgkmcnt(1)
	global_store_dwordx4 v[4:5], v[42:45], off offset:64
	s_waitcnt lgkmcnt(0)
	global_store_dwordx4 v[4:5], v[46:49], off offset:480
	s_and_b32 exec_lo, exec_lo, vcc_lo
	s_cbranch_execz .LBB0_20
; %bb.19:
	ds_read_b128 v[2:5], v76 offset:4592
	v_add_co_u32 v0, vcc_lo, 0x1000, v0
	v_add_co_ci_u32_e32 v1, vcc_lo, 0, v1, vcc_lo
	s_waitcnt lgkmcnt(0)
	global_store_dwordx4 v[0:1], v[2:5], off offset:896
.LBB0_20:
	s_endpgm
	.section	.rodata,"a",@progbits
	.p2align	6, 0x0
	.amdhsa_kernel fft_rtc_fwd_len312_factors_13_4_3_2_wgs_52_tpt_26_dp_ip_CI_unitstride_sbrr_R2C_dirReg
		.amdhsa_group_segment_fixed_size 0
		.amdhsa_private_segment_fixed_size 0
		.amdhsa_kernarg_size 88
		.amdhsa_user_sgpr_count 6
		.amdhsa_user_sgpr_private_segment_buffer 1
		.amdhsa_user_sgpr_dispatch_ptr 0
		.amdhsa_user_sgpr_queue_ptr 0
		.amdhsa_user_sgpr_kernarg_segment_ptr 1
		.amdhsa_user_sgpr_dispatch_id 0
		.amdhsa_user_sgpr_flat_scratch_init 0
		.amdhsa_user_sgpr_private_segment_size 0
		.amdhsa_wavefront_size32 1
		.amdhsa_uses_dynamic_stack 0
		.amdhsa_system_sgpr_private_segment_wavefront_offset 0
		.amdhsa_system_sgpr_workgroup_id_x 1
		.amdhsa_system_sgpr_workgroup_id_y 0
		.amdhsa_system_sgpr_workgroup_id_z 0
		.amdhsa_system_sgpr_workgroup_info 0
		.amdhsa_system_vgpr_workitem_id 0
		.amdhsa_next_free_vgpr 133
		.amdhsa_next_free_sgpr 42
		.amdhsa_reserve_vcc 1
		.amdhsa_reserve_flat_scratch 0
		.amdhsa_float_round_mode_32 0
		.amdhsa_float_round_mode_16_64 0
		.amdhsa_float_denorm_mode_32 3
		.amdhsa_float_denorm_mode_16_64 3
		.amdhsa_dx10_clamp 1
		.amdhsa_ieee_mode 1
		.amdhsa_fp16_overflow 0
		.amdhsa_workgroup_processor_mode 1
		.amdhsa_memory_ordered 1
		.amdhsa_forward_progress 0
		.amdhsa_shared_vgpr_count 0
		.amdhsa_exception_fp_ieee_invalid_op 0
		.amdhsa_exception_fp_denorm_src 0
		.amdhsa_exception_fp_ieee_div_zero 0
		.amdhsa_exception_fp_ieee_overflow 0
		.amdhsa_exception_fp_ieee_underflow 0
		.amdhsa_exception_fp_ieee_inexact 0
		.amdhsa_exception_int_div_zero 0
	.end_amdhsa_kernel
	.text
.Lfunc_end0:
	.size	fft_rtc_fwd_len312_factors_13_4_3_2_wgs_52_tpt_26_dp_ip_CI_unitstride_sbrr_R2C_dirReg, .Lfunc_end0-fft_rtc_fwd_len312_factors_13_4_3_2_wgs_52_tpt_26_dp_ip_CI_unitstride_sbrr_R2C_dirReg
                                        ; -- End function
	.section	.AMDGPU.csdata,"",@progbits
; Kernel info:
; codeLenInByte = 10060
; NumSgprs: 44
; NumVgprs: 133
; ScratchSize: 0
; MemoryBound: 0
; FloatMode: 240
; IeeeMode: 1
; LDSByteSize: 0 bytes/workgroup (compile time only)
; SGPRBlocks: 5
; VGPRBlocks: 16
; NumSGPRsForWavesPerEU: 44
; NumVGPRsForWavesPerEU: 133
; Occupancy: 7
; WaveLimiterHint : 1
; COMPUTE_PGM_RSRC2:SCRATCH_EN: 0
; COMPUTE_PGM_RSRC2:USER_SGPR: 6
; COMPUTE_PGM_RSRC2:TRAP_HANDLER: 0
; COMPUTE_PGM_RSRC2:TGID_X_EN: 1
; COMPUTE_PGM_RSRC2:TGID_Y_EN: 0
; COMPUTE_PGM_RSRC2:TGID_Z_EN: 0
; COMPUTE_PGM_RSRC2:TIDIG_COMP_CNT: 0
	.text
	.p2alignl 6, 3214868480
	.fill 48, 4, 3214868480
	.type	__hip_cuid_b17d72c617282a0,@object ; @__hip_cuid_b17d72c617282a0
	.section	.bss,"aw",@nobits
	.globl	__hip_cuid_b17d72c617282a0
__hip_cuid_b17d72c617282a0:
	.byte	0                               ; 0x0
	.size	__hip_cuid_b17d72c617282a0, 1

	.ident	"AMD clang version 19.0.0git (https://github.com/RadeonOpenCompute/llvm-project roc-6.4.0 25133 c7fe45cf4b819c5991fe208aaa96edf142730f1d)"
	.section	".note.GNU-stack","",@progbits
	.addrsig
	.addrsig_sym __hip_cuid_b17d72c617282a0
	.amdgpu_metadata
---
amdhsa.kernels:
  - .args:
      - .actual_access:  read_only
        .address_space:  global
        .offset:         0
        .size:           8
        .value_kind:     global_buffer
      - .offset:         8
        .size:           8
        .value_kind:     by_value
      - .actual_access:  read_only
        .address_space:  global
        .offset:         16
        .size:           8
        .value_kind:     global_buffer
      - .actual_access:  read_only
        .address_space:  global
        .offset:         24
        .size:           8
        .value_kind:     global_buffer
      - .offset:         32
        .size:           8
        .value_kind:     by_value
      - .actual_access:  read_only
        .address_space:  global
        .offset:         40
        .size:           8
        .value_kind:     global_buffer
      - .actual_access:  read_only
        .address_space:  global
        .offset:         48
        .size:           8
        .value_kind:     global_buffer
      - .offset:         56
        .size:           4
        .value_kind:     by_value
      - .actual_access:  read_only
        .address_space:  global
        .offset:         64
        .size:           8
        .value_kind:     global_buffer
      - .actual_access:  read_only
        .address_space:  global
        .offset:         72
        .size:           8
        .value_kind:     global_buffer
      - .address_space:  global
        .offset:         80
        .size:           8
        .value_kind:     global_buffer
    .group_segment_fixed_size: 0
    .kernarg_segment_align: 8
    .kernarg_segment_size: 88
    .language:       OpenCL C
    .language_version:
      - 2
      - 0
    .max_flat_workgroup_size: 52
    .name:           fft_rtc_fwd_len312_factors_13_4_3_2_wgs_52_tpt_26_dp_ip_CI_unitstride_sbrr_R2C_dirReg
    .private_segment_fixed_size: 0
    .sgpr_count:     44
    .sgpr_spill_count: 0
    .symbol:         fft_rtc_fwd_len312_factors_13_4_3_2_wgs_52_tpt_26_dp_ip_CI_unitstride_sbrr_R2C_dirReg.kd
    .uniform_work_group_size: 1
    .uses_dynamic_stack: false
    .vgpr_count:     133
    .vgpr_spill_count: 0
    .wavefront_size: 32
    .workgroup_processor_mode: 1
amdhsa.target:   amdgcn-amd-amdhsa--gfx1030
amdhsa.version:
  - 1
  - 2
...

	.end_amdgpu_metadata
